;; amdgpu-corpus repo=ROCm/rocFFT kind=compiled arch=gfx950 opt=O3
	.text
	.amdgcn_target "amdgcn-amd-amdhsa--gfx950"
	.amdhsa_code_object_version 6
	.protected	bluestein_single_fwd_len21_dim1_sp_op_CI_CI ; -- Begin function bluestein_single_fwd_len21_dim1_sp_op_CI_CI
	.globl	bluestein_single_fwd_len21_dim1_sp_op_CI_CI
	.p2align	8
	.type	bluestein_single_fwd_len21_dim1_sp_op_CI_CI,@function
bluestein_single_fwd_len21_dim1_sp_op_CI_CI: ; @bluestein_single_fwd_len21_dim1_sp_op_CI_CI
; %bb.0:
	s_load_dwordx4 s[12:15], s[0:1], 0x28
	v_mul_u32_u24_e32 v1, 0x2493, v0
	v_lshrrev_b32_e32 v2, 16, v1
	v_mad_u64_u32 v[24:25], s[2:3], s2, 18, v[2:3]
	v_mov_b32_e32 v33, 0
	v_mov_b32_e32 v25, v33
	s_waitcnt lgkmcnt(0)
	v_cmp_gt_u64_e32 vcc, s[12:13], v[24:25]
	s_and_saveexec_b64 s[2:3], vcc
	s_cbranch_execz .LBB0_10
; %bb.1:
	s_load_dwordx4 s[4:7], s[0:1], 0x18
	s_load_dwordx4 s[8:11], s[0:1], 0x0
	v_mul_lo_u16_e32 v1, 7, v2
	v_sub_u16_e32 v25, v0, v1
	v_mov_b32_e32 v4, s14
	s_waitcnt lgkmcnt(0)
	s_load_dwordx4 s[16:19], s[4:5], 0x0
	v_mov_b32_e32 v5, s15
	v_lshlrev_b32_e32 v32, 3, v25
	global_load_dwordx2 v[30:31], v32, s[8:9]
	v_cmp_gt_u16_e32 vcc, 3, v25
	s_waitcnt lgkmcnt(0)
	v_mad_u64_u32 v[0:1], s[2:3], s18, v24, 0
	v_mov_b32_e32 v2, v1
	v_mad_u64_u32 v[2:3], s[2:3], s19, v24, v[2:3]
	v_mov_b32_e32 v1, v2
	;; [unrolled: 2-line block ×4, first 2 shown]
	v_lshl_add_u64 v[0:1], v[0:1], 3, v[4:5]
	v_lshl_add_u64 v[0:1], v[2:3], 3, v[0:1]
	global_load_dwordx2 v[2:3], v[0:1], off
	v_mad_u64_u32 v[0:1], s[2:3], s16, 56, v[0:1]
	s_mul_i32 s4, s17, 56
	v_add_u32_e32 v1, s4, v1
	global_load_dwordx2 v[4:5], v[0:1], off
	global_load_dwordx2 v[28:29], v32, s[8:9] offset:56
	v_mad_u64_u32 v[0:1], s[2:3], s16, 56, v[0:1]
	v_add_u32_e32 v1, s4, v1
	global_load_dwordx2 v[26:27], v32, s[8:9] offset:112
	global_load_dwordx2 v[6:7], v[0:1], off
	s_load_dwordx2 s[2:3], s[0:1], 0x38
	s_mov_b32 s1, 0x38e38e39
	v_mul_hi_u32 v0, v24, s1
	v_lshrrev_b32_e32 v0, 2, v0
	v_mul_lo_u32 v0, v0, 18
	v_sub_u32_e32 v0, v24, v0
	v_mul_u32_u24_e32 v0, 21, v0
	v_mul_lo_u16_e32 v1, 3, v25
	v_lshlrev_b32_e32 v45, 3, v0
	v_lshl_add_u32 v46, v1, 3, v45
	v_add_u32_e32 v43, v32, v45
	s_load_dwordx4 s[4:7], s[6:7], 0x0
	s_mov_b32 s0, 0x3f5db3d7
	s_waitcnt vmcnt(4)
	v_mul_f32_e32 v0, v3, v31
	v_mul_f32_e32 v1, v2, v31
	v_fmac_f32_e32 v0, v2, v30
	v_fma_f32 v1, v3, v30, -v1
	s_waitcnt vmcnt(2)
	v_mul_f32_e32 v2, v5, v29
	v_mul_f32_e32 v3, v4, v29
	v_fmac_f32_e32 v2, v4, v28
	v_fma_f32 v3, v5, v28, -v3
	ds_write2_b64 v43, v[0:1], v[2:3] offset1:7
	s_waitcnt vmcnt(0)
	v_mul_f32_e32 v0, v7, v27
	v_mul_f32_e32 v1, v6, v27
	v_fmac_f32_e32 v0, v6, v26
	v_fma_f32 v1, v7, v26, -v1
	ds_write_b64 v43, v[0:1] offset:112
	s_waitcnt lgkmcnt(0)
	s_barrier
	ds_read2_b64 v[0:3], v43 offset1:7
	ds_read_b64 v[4:5], v43 offset:112
	s_waitcnt lgkmcnt(0)
	s_barrier
	v_pk_add_f32 v[6:7], v[0:1], v[2:3]
	v_pk_add_f32 v[8:9], v[2:3], v[4:5]
	v_pk_add_f32 v[2:3], v[2:3], v[4:5] neg_lo:[0,1] neg_hi:[0,1]
	v_pk_fma_f32 v[0:1], -0.5, v[8:9], v[0:1] op_sel_hi:[0,1,1]
	v_pk_mul_f32 v[2:3], v[2:3], s[0:1] op_sel_hi:[1,0]
	v_pk_add_f32 v[12:13], v[6:7], v[4:5]
	v_pk_add_f32 v[16:17], v[0:1], v[2:3] op_sel:[0,1] op_sel_hi:[1,0] neg_lo:[0,1] neg_hi:[0,1]
	v_pk_add_f32 v[36:37], v[2:3], v[0:1] op_sel:[1,0] op_sel_hi:[0,1]
	v_mov_b32_e32 v0, v36
	v_mov_b32_e32 v1, v17
	v_cmp_lt_u16_e64 s[0:1], 2, v25
	v_mov_b32_e32 v2, v16
	v_mov_b32_e32 v3, v37
	ds_write2_b64 v46, v[12:13], v[0:1] offset1:1
	ds_write_b64 v46, v[2:3] offset:16
	s_waitcnt lgkmcnt(0)
	s_barrier
	s_and_saveexec_b64 s[12:13], s[0:1]
	s_xor_b64 s[12:13], exec, s[12:13]
	s_or_saveexec_b64 s[12:13], s[12:13]
                                        ; implicit-def: $vgpr34
                                        ; implicit-def: $vgpr22
                                        ; implicit-def: $vgpr14
                                        ; implicit-def: $vgpr38
                                        ; implicit-def: $vgpr44
                                        ; implicit-def: $vgpr42
	s_xor_b64 exec, exec, s[12:13]
	s_cbranch_execz .LBB0_3
; %bb.2:
	ds_read2_b64 v[12:15], v43 offset1:3
	ds_read2_b64 v[16:19], v43 offset0:6 offset1:9
	ds_read2_b64 v[20:23], v43 offset0:12 offset1:15
	ds_read_b64 v[38:39], v43 offset:144
	s_waitcnt lgkmcnt(3)
	v_mov_b32_e32 v36, v14
	s_waitcnt lgkmcnt(2)
	v_mov_b32_e32 v37, v17
	v_mov_b32_e32 v17, v15
	;; [unrolled: 1-line block ×3, first 2 shown]
	s_waitcnt lgkmcnt(1)
	v_mov_b32_e32 v14, v23
	s_waitcnt lgkmcnt(0)
	v_mov_b32_e32 v44, v39
	v_mov_b32_e32 v42, v21
.LBB0_3:
	s_or_b64 exec, exec, s[12:13]
	s_movk_i32 s12, 0xab
	v_mul_lo_u16_sdwa v0, v25, s12 dst_sel:DWORD dst_unused:UNUSED_PAD src0_sel:BYTE_0 src1_sel:DWORD
	v_lshrrev_b16_e32 v0, 9, v0
	v_mul_lo_u16_e32 v0, 3, v0
	v_sub_u16_e32 v0, v25, v0
	v_mul_lo_u16_e32 v0, 6, v0
	v_and_b32_e32 v0, 0xfe, v0
	v_lshlrev_b32_e32 v15, 3, v0
	global_load_dwordx4 v[8:11], v15, s[10:11] offset:16
	global_load_dwordx4 v[0:3], v15, s[10:11]
	global_load_dwordx4 v[4:7], v15, s[10:11] offset:32
	s_mov_b32 s12, 0x3d64c772
	s_mov_b32 s18, 0xbf08b237
	;; [unrolled: 1-line block ×8, first 2 shown]
	v_lshl_add_u64 v[40:41], s[8:9], 0, v[32:33]
	s_waitcnt vmcnt(2)
	v_pk_mul_f32 v[48:49], v[34:35], v[8:9] op_sel_hi:[0,1]
	v_mov_b32_e32 v34, v11
	v_mov_b32_e32 v35, v10
	s_waitcnt vmcnt(1)
	v_pk_mul_f32 v[50:51], v[16:17], v[0:1] op_sel:[1,0]
	v_pk_mul_f32 v[52:53], v[36:37], v[2:3] op_sel:[1,0]
	s_waitcnt vmcnt(0)
	v_pk_mul_f32 v[14:15], v[14:15], v[4:5] op_sel_hi:[0,1]
	v_pk_mul_f32 v[54:55], v[44:45], v[6:7] op_sel_hi:[0,1]
	v_pk_fma_f32 v[56:57], v[18:19], v[8:9], v[48:49] op_sel:[0,0,1] op_sel_hi:[0,1,0]
	v_pk_fma_f32 v[18:19], v[18:19], v[8:9], v[48:49] op_sel:[0,0,1] op_sel_hi:[0,1,0] neg_lo:[0,0,1] neg_hi:[0,0,1]
	v_pk_mul_f32 v[48:49], v[42:43], v[34:35] op_sel_hi:[0,1]
	v_pk_fma_f32 v[58:59], v[36:37], v[0:1], v[50:51] op_sel:[0,0,1] op_sel_hi:[0,1,0]
	v_pk_fma_f32 v[36:37], v[36:37], v[0:1], v[50:51] op_sel:[0,0,1] op_sel_hi:[0,1,0] neg_lo:[0,0,1] neg_hi:[0,0,1]
	v_pk_fma_f32 v[50:51], v[16:17], v[2:3], v[52:53] op_sel:[0,0,1] op_sel_hi:[0,1,0]
	v_pk_fma_f32 v[16:17], v[16:17], v[2:3], v[52:53] op_sel:[0,0,1] op_sel_hi:[0,1,0] neg_lo:[0,0,1] neg_hi:[0,0,1]
	;; [unrolled: 2-line block ×4, first 2 shown]
	v_pk_fma_f32 v[54:55], v[20:21], v[10:11], v[48:49] op_sel_hi:[0,1,1]
	v_pk_fma_f32 v[20:21], v[20:21], v[10:11], v[48:49] op_sel_hi:[0,1,1] neg_lo:[0,0,1] neg_hi:[0,0,1]
	v_mov_b32_e32 v37, v59
	v_mov_b32_e32 v17, v51
	;; [unrolled: 1-line block ×6, first 2 shown]
	v_pk_add_f32 v[22:23], v[36:37], v[38:39]
	v_pk_add_f32 v[36:37], v[36:37], v[38:39] neg_lo:[0,1] neg_hi:[0,1]
	v_pk_add_f32 v[38:39], v[16:17], v[14:15]
	v_pk_add_f32 v[14:15], v[16:17], v[14:15] neg_lo:[0,1] neg_hi:[0,1]
	v_pk_add_f32 v[16:17], v[18:19], v[20:21]
	v_pk_add_f32 v[18:19], v[20:21], v[18:19] neg_lo:[0,1] neg_hi:[0,1]
	v_pk_add_f32 v[20:21], v[38:39], v[22:23]
	v_mov_b32_e32 v54, v16
	v_mov_b32_e32 v55, v21
	;; [unrolled: 1-line block ×3, first 2 shown]
	v_pk_add_f32 v[48:49], v[38:39], v[22:23] neg_lo:[0,1] neg_hi:[0,1]
	v_pk_add_f32 v[50:51], v[14:15], v[36:37] op_sel:[1,1] op_sel_hi:[0,0] neg_lo:[0,1] neg_hi:[0,1]
	v_pk_add_f32 v[38:39], v[16:17], v[38:39] neg_lo:[0,1] neg_hi:[0,1]
	v_pk_add_f32 v[52:53], v[18:19], v[14:15] op_sel:[1,1] op_sel_hi:[0,0]
	v_pk_add_f32 v[14:15], v[18:19], v[14:15] op_sel:[1,1] op_sel_hi:[0,0] neg_lo:[0,1] neg_hi:[0,1]
	v_pk_add_f32 v[16:17], v[22:23], v[16:17] neg_lo:[0,1] neg_hi:[0,1]
	v_pk_add_f32 v[22:23], v[54:55], v[20:21]
	v_pk_mul_f32 v[56:57], v[50:51], s[20:21] op_sel_hi:[1,0]
	v_pk_add_f32 v[18:19], v[36:37], v[18:19] op_sel:[1,1] op_sel_hi:[0,0] neg_lo:[0,1] neg_hi:[0,1]
	v_pk_add_f32 v[36:37], v[52:53], v[36:37] op_sel:[0,1] op_sel_hi:[1,0]
	v_pk_mul_f32 v[20:21], v[38:39], s[12:13] op_sel_hi:[1,0]
	v_pk_mul_f32 v[14:15], v[14:15], s[18:19] op_sel_hi:[1,0]
	;; [unrolled: 1-line block ×3, first 2 shown]
	v_pk_add_f32 v[16:17], v[12:13], v[22:23]
	v_pk_fma_f32 v[54:55], v[18:19], s[24:25], v[56:57] op_sel_hi:[1,0,1] neg_lo:[1,0,1] neg_hi:[1,0,1]
	v_pk_fma_f32 v[12:13], v[48:49], s[14:15], v[20:21] op_sel_hi:[1,0,1] neg_lo:[0,0,1] neg_hi:[0,0,1]
	;; [unrolled: 1-line block ×3, first 2 shown]
	v_pk_fma_f32 v[38:39], v[38:39], s[12:13], v[52:53] op_sel_hi:[1,0,1]
	v_pk_fma_f32 v[14:15], v[18:19], s[24:25], v[14:15] op_sel_hi:[1,0,1]
	v_pk_fma_f32 v[18:19], v[48:49], s[14:15], v[52:53] op_sel_hi:[1,0,1] neg_lo:[1,0,1] neg_hi:[1,0,1]
	v_pk_fma_f32 v[22:23], v[22:23], s[10:11], v[16:17] op_sel_hi:[1,0,1]
	v_pk_fma_f32 v[20:21], v[36:37], s[16:17], v[54:55] op_sel_hi:[1,0,1]
	;; [unrolled: 1-line block ×4, first 2 shown]
	v_pk_add_f32 v[52:53], v[12:13], v[22:23]
	v_pk_add_f32 v[54:55], v[38:39], v[22:23]
	;; [unrolled: 1-line block ×3, first 2 shown]
	v_mov_b32_e32 v49, v20
	v_mov_b32_e32 v51, v21
	;; [unrolled: 1-line block ×4, first 2 shown]
	v_pk_add_f32 v[18:19], v[52:53], v[36:37] neg_lo:[0,1] neg_hi:[0,1]
	v_pk_add_f32 v[12:13], v[52:53], v[36:37]
	v_mov_b32_e32 v36, v52
	v_mov_b32_e32 v37, v22
	;; [unrolled: 1-line block ×4, first 2 shown]
	v_pk_add_f32 v[38:39], v[54:55], v[14:15] neg_lo:[0,1] neg_hi:[0,1]
	v_mov_b32_e32 v13, v19
	v_pk_add_f32 v[18:19], v[36:37], v[48:49] neg_lo:[0,1] neg_hi:[0,1]
	v_pk_add_f32 v[36:37], v[50:51], v[52:53]
	v_pk_add_f32 v[14:15], v[54:55], v[14:15]
	s_and_saveexec_b64 s[10:11], vcc
	s_cbranch_execz .LBB0_5
; %bb.4:
	v_pk_add_f32 v[48:49], v[22:23], v[20:21]
	v_pk_add_f32 v[20:21], v[22:23], v[20:21] neg_lo:[0,1] neg_hi:[0,1]
	ds_write_b64 v43, v[16:17]
	v_lshl_add_u32 v20, v25, 3, v45
	v_mov_b32_e32 v16, v14
	v_mov_b32_e32 v17, v39
	v_mov_b32_e32 v49, v21
	ds_write2_b64 v20, v[16:17], v[48:49] offset0:3 offset1:6
	v_mov_b32_e32 v16, v18
	v_mov_b32_e32 v17, v36
	ds_write2_b64 v20, v[16:17], v[12:13] offset0:9 offset1:12
	v_mov_b32_e32 v16, v19
	v_mov_b32_e32 v17, v37
	;; [unrolled: 1-line block ×3, first 2 shown]
	ds_write2_b64 v20, v[16:17], v[38:39] offset0:15 offset1:18
.LBB0_5:
	s_or_b64 exec, exec, s[10:11]
	s_add_u32 s8, s8, 0xa8
	s_waitcnt lgkmcnt(0)
	s_barrier
	global_load_dwordx2 v[16:17], v[40:41], off offset:168
	s_addc_u32 s9, s9, 0
	global_load_dwordx2 v[40:41], v32, s[8:9] offset:56
	global_load_dwordx2 v[48:49], v32, s[8:9] offset:112
	ds_read2_b64 v[20:23], v43 offset1:7
	ds_read_b64 v[32:33], v43 offset:112
	s_mov_b32 s8, 0x3f5db3d7
	s_waitcnt vmcnt(2) lgkmcnt(1)
	v_mul_f32_e32 v14, v21, v17
	v_mul_f32_e32 v51, v20, v17
	v_fma_f32 v50, v20, v16, -v14
	v_fmac_f32_e32 v51, v21, v16
	s_waitcnt vmcnt(1)
	v_mul_f32_e32 v14, v23, v41
	v_mul_f32_e32 v17, v22, v41
	s_waitcnt vmcnt(0) lgkmcnt(0)
	v_mul_f32_e32 v20, v33, v49
	v_mul_f32_e32 v21, v32, v49
	v_fma_f32 v16, v22, v40, -v14
	v_fmac_f32_e32 v17, v23, v40
	v_fma_f32 v20, v32, v48, -v20
	v_fmac_f32_e32 v21, v33, v48
	ds_write2_b64 v43, v[50:51], v[16:17] offset1:7
	ds_write_b64 v43, v[20:21] offset:112
	s_waitcnt lgkmcnt(0)
	s_barrier
	ds_read2_b64 v[20:23], v43 offset1:7
	ds_read_b64 v[16:17], v43 offset:112
	s_waitcnt lgkmcnt(0)
	s_barrier
	v_pk_add_f32 v[32:33], v[20:21], v[22:23]
	v_pk_add_f32 v[40:41], v[22:23], v[16:17]
	v_pk_add_f32 v[22:23], v[22:23], v[16:17] neg_lo:[0,1] neg_hi:[0,1]
	v_pk_fma_f32 v[20:21], -0.5, v[40:41], v[20:21] op_sel_hi:[0,1,1]
	v_pk_mul_f32 v[22:23], v[22:23], s[8:9] op_sel_hi:[1,0]
	v_pk_add_f32 v[16:17], v[32:33], v[16:17]
	v_pk_add_f32 v[32:33], v[20:21], v[22:23] op_sel:[0,1] op_sel_hi:[1,0]
	v_pk_add_f32 v[22:23], v[20:21], v[22:23] op_sel:[0,1] op_sel_hi:[1,0] neg_lo:[0,1] neg_hi:[0,1]
	v_mov_b32_e32 v21, v33
	v_mov_b32_e32 v20, v22
	;; [unrolled: 1-line block ×4, first 2 shown]
	ds_write2_b64 v46, v[16:17], v[20:21] offset1:1
	ds_write_b64 v46, v[40:41] offset:16
	s_waitcnt lgkmcnt(0)
	s_barrier
	s_and_saveexec_b64 s[8:9], s[0:1]
	s_xor_b64 s[0:1], exec, s[8:9]
	s_andn2_saveexec_b64 s[0:1], s[0:1]
	s_cbranch_execz .LBB0_7
; %bb.6:
	ds_read2_b64 v[16:19], v43 offset0:6 offset1:9
	ds_read2_b64 v[12:15], v43 offset0:12 offset1:15
	ds_read2_b64 v[20:23], v43 offset1:3
	ds_read_b64 v[38:39], v43 offset:144
	s_waitcnt lgkmcnt(3)
	v_mov_b32_e32 v36, v19
	s_waitcnt lgkmcnt(2)
	v_mov_b32_e32 v37, v15
	v_mov_b32_e32 v19, v14
	;; [unrolled: 1-line block ×3, first 2 shown]
	s_waitcnt lgkmcnt(1)
	v_mov_b32_e32 v33, v23
	v_mov_b32_e32 v23, v17
	s_waitcnt lgkmcnt(0)
	v_mov_b32_e32 v15, v39
	v_mov_b64_e32 v[16:17], v[20:21]
.LBB0_7:
	s_or_b64 exec, exec, s[0:1]
	s_and_saveexec_b64 s[0:1], vcc
	s_cbranch_execz .LBB0_9
; %bb.8:
	v_pk_mul_f32 v[38:39], v[6:7], v[38:39] op_sel_hi:[1,0]
	v_mov_b32_e32 v14, v15
	v_mov_b32_e32 v40, v15
	v_lshl_add_u32 v41, v25, 3, v45
	v_pk_mul_f32 v[20:21], v[0:1], v[22:23] op_sel_hi:[1,0]
	v_mov_b32_e32 v42, v13
	v_pk_fma_f32 v[14:15], v[6:7], v[14:15], v[38:39] op_sel:[0,0,1] op_sel_hi:[1,1,0] neg_lo:[0,0,1] neg_hi:[0,0,1]
	v_pk_fma_f32 v[6:7], v[6:7], v[40:41], v[38:39] op_sel:[0,0,1] op_sel_hi:[1,0,0]
	v_pk_mul_f32 v[46:47], v[34:35], v[42:43]
	v_mov_b32_e32 v42, v9
	v_pk_mul_f32 v[54:55], v[4:5], v[18:19] op_sel:[0,1]
	v_mov_b32_e32 v15, v7
	v_pk_fma_f32 v[6:7], v[0:1], v[32:33], v[20:21] op_sel:[0,1,1] op_sel_hi:[1,1,0] neg_lo:[0,0,1] neg_hi:[0,0,1]
	v_pk_fma_f32 v[0:1], v[0:1], v[32:33], v[20:21] op_sel:[0,1,1] op_sel_hi:[1,1,0]
	v_pk_mul_f32 v[48:49], v[8:9], v[18:19]
	v_pk_mul_f32 v[52:53], v[2:3], v[32:33] op_sel_hi:[1,0]
	v_pk_mul_f32 v[18:19], v[42:43], v[18:19]
	v_mov_b32_e32 v7, v1
	v_pk_fma_f32 v[0:1], v[4:5], v[36:37], v[54:55] op_sel:[0,1,1] op_sel_hi:[1,1,0] neg_lo:[0,0,1] neg_hi:[0,0,1]
	v_pk_fma_f32 v[4:5], v[4:5], v[36:37], v[54:55] op_sel:[0,1,1] op_sel_hi:[1,1,0]
	v_pk_mul_f32 v[10:11], v[10:11], v[12:13]
	v_pk_mul_f32 v[50:51], v[42:43], v[36:37]
	v_pk_fma_f32 v[8:9], v[8:9], v[36:37], v[18:19] neg_lo:[0,0,1] neg_hi:[0,0,1]
	v_pk_mul_f32 v[18:19], v[34:35], v[12:13]
	v_mov_b32_e32 v1, v5
	v_pk_fma_f32 v[4:5], v[2:3], v[22:23], v[52:53] op_sel:[0,1,1] op_sel_hi:[1,1,0] neg_lo:[0,0,1] neg_hi:[0,0,1]
	v_pk_fma_f32 v[2:3], v[2:3], v[22:23], v[52:53] op_sel:[0,1,1] op_sel_hi:[1,1,0]
	v_mov_b32_e32 v18, v19
	v_mov_b32_e32 v5, v3
	;; [unrolled: 1-line block ×6, first 2 shown]
	v_pk_fma_f32 v[12:13], v[34:35], v[12:13], v[18:19] neg_lo:[1,0,0] neg_hi:[1,0,0]
	v_pk_add_f32 v[2:3], v[14:15], v[6:7]
	v_pk_add_f32 v[18:19], v[0:1], v[4:5]
	v_pk_add_f32 v[20:21], v[6:7], v[14:15] neg_lo:[0,1] neg_hi:[0,1]
	v_pk_add_f32 v[22:23], v[4:5], v[0:1] neg_lo:[0,1] neg_hi:[0,1]
	v_pk_add_f32 v[6:7], v[10:11], v[46:47]
	v_pk_add_f32 v[0:1], v[48:49], v[50:51]
	v_mov_b32_e32 v13, v6
	v_mov_b32_e32 v9, v0
	v_pk_add_f32 v[4:5], v[12:13], v[8:9] neg_lo:[0,1] neg_hi:[0,1]
	s_mov_b32 s8, 0xbeae86e6
	v_mov_b32_e32 v14, v4
	s_mov_b32 s9, 0x3f08b237
	v_pk_add_f32 v[32:33], v[4:5], v[22:23]
	v_mov_b32_e32 v34, v4
	v_mov_b32_e32 v35, v21
	;; [unrolled: 1-line block ×6, first 2 shown]
	v_pk_add_f32 v[4:5], v[34:35], v[4:5] neg_lo:[0,1] neg_hi:[0,1]
	s_mov_b32 s12, s9
	s_mov_b32 s13, s8
	v_mov_b32_e32 v34, v19
	v_mov_b32_e32 v35, v8
	;; [unrolled: 1-line block ×4, first 2 shown]
	v_pk_add_f32 v[10:11], v[10:11], v[14:15] neg_lo:[0,1] neg_hi:[0,1]
	v_pk_mul_f32 v[4:5], v[4:5], s[12:13]
	v_pk_add_f32 v[8:9], v[34:35], v[8:9]
	v_pk_add_f32 v[12:13], v[0:1], v[6:7]
	v_pk_mul_f32 v[14:15], v[10:11], s[8:9]
	v_pk_fma_f32 v[10:11], v[10:11], s[8:9], v[4:5]
	v_pk_add_f32 v[34:35], v[8:9], v[12:13]
	v_mov_b32_e32 v8, v3
	v_mov_b32_e32 v13, v1
	s_mov_b32 s8, 0x3f4a47b2
	v_pk_add_f32 v[36:37], v[8:9], v[12:13] neg_lo:[0,1] neg_hi:[0,1]
	s_mov_b32 s9, 0x3d64c772
	v_mov_b32_e32 v13, v7
	v_mov_b32_e32 v8, v19
	v_pk_add_f32 v[8:9], v[12:13], v[8:9] neg_lo:[0,1] neg_hi:[0,1]
	s_mov_b32 s12, s9
	s_mov_b32 s13, s8
	v_pk_mul_f32 v[8:9], v[8:9], s[12:13]
	v_pk_add_f32 v[16:17], v[16:17], v[34:35]
	v_pk_mul_f32 v[38:39], v[36:37], s[8:9]
	v_pk_fma_f32 v[12:13], v[36:37], s[8:9], v[8:9]
	s_mov_b32 s8, 0xbf955555
	v_mov_b32_e32 v0, v19
	v_mov_b32_e32 v6, v3
	v_pk_add_f32 v[32:33], v[32:33], v[20:21]
	v_pk_fma_f32 v[34:35], v[34:35], s[8:9], v[16:17] op_sel_hi:[1,0,1]
	ds_write_b64 v43, v[16:17]
	v_pk_add_f32 v[16:17], v[22:23], v[20:21] neg_lo:[0,1] neg_hi:[0,1]
	s_mov_b32 s8, 0xbf5ff5aa
	v_mov_b32_e32 v20, v14
	v_mov_b32_e32 v21, v5
	v_pk_add_f32 v[0:1], v[0:1], v[6:7] neg_lo:[0,1] neg_hi:[0,1]
	s_mov_b32 s12, 0x3f3bfb3b
	v_mov_b32_e32 v2, v38
	v_mov_b32_e32 v3, v9
	;; [unrolled: 1-line block ×4, first 2 shown]
	s_mov_b32 s10, 0xbee1c552
	v_pk_fma_f32 v[20:21], v[16:17], s[8:9], v[20:21] op_sel_hi:[1,0,1] neg_lo:[1,0,1] neg_hi:[1,0,1]
	v_pk_fma_f32 v[2:3], v[0:1], s[12:13], v[2:3] op_sel_hi:[1,0,1] neg_lo:[1,0,1] neg_hi:[1,0,1]
	v_pk_fma_f32 v[4:5], v[16:17], s[8:9], v[4:5] op_sel_hi:[1,0,1] neg_lo:[0,0,1] neg_hi:[0,0,1]
	v_pk_fma_f32 v[0:1], v[0:1], s[12:13], v[8:9] op_sel_hi:[1,0,1] neg_lo:[0,0,1] neg_hi:[0,0,1]
	v_pk_fma_f32 v[10:11], v[32:33], s[10:11], v[10:11] op_sel_hi:[1,0,1]
	v_pk_add_f32 v[12:13], v[12:13], v[34:35]
	v_pk_fma_f32 v[20:21], v[32:33], s[10:11], v[20:21] op_sel_hi:[1,0,1]
	v_pk_add_f32 v[2:3], v[2:3], v[34:35]
	;; [unrolled: 2-line block ×3, first 2 shown]
	v_pk_add_f32 v[36:37], v[12:13], v[10:11]
	v_pk_add_f32 v[10:11], v[12:13], v[10:11] neg_lo:[0,1] neg_hi:[0,1]
	v_pk_add_f32 v[6:7], v[2:3], v[20:21]
	v_pk_add_f32 v[2:3], v[2:3], v[20:21] neg_lo:[0,1] neg_hi:[0,1]
	v_pk_add_f32 v[8:9], v[0:1], v[4:5] neg_lo:[0,1] neg_hi:[0,1]
	v_pk_add_f32 v[0:1], v[0:1], v[4:5]
	v_mov_b32_e32 v12, v36
	v_mov_b32_e32 v13, v11
	;; [unrolled: 1-line block ×9, first 2 shown]
	ds_write2_b64 v41, v[12:13], v[18:19] offset0:3 offset1:6
	ds_write2_b64 v41, v[4:5], v[0:1] offset0:9 offset1:12
	;; [unrolled: 1-line block ×3, first 2 shown]
.LBB0_9:
	s_or_b64 exec, exec, s[0:1]
	s_waitcnt lgkmcnt(0)
	s_barrier
	ds_read2_b64 v[0:3], v43 offset1:7
	v_mad_u64_u32 v[6:7], s[0:1], s6, v24, 0
	v_mov_b32_e32 v8, v7
	v_mad_u64_u32 v[8:9], s[0:1], s7, v24, v[8:9]
	v_mov_b32_e32 v7, v8
	s_waitcnt lgkmcnt(0)
	v_mul_f32_e32 v8, v31, v1
	v_fmac_f32_e32 v8, v30, v0
	v_mul_f32_e32 v0, v31, v0
	s_mov_b32 s0, 0x18618618
	v_fma_f32 v0, v30, v1, -v0
	v_cvt_f64_f32_e32 v[8:9], v8
	s_mov_b32 s1, 0x3fa86186
	v_cvt_f64_f32_e32 v[0:1], v0
	v_mul_f64 v[8:9], v[8:9], s[0:1]
	v_mul_f64 v[0:1], v[0:1], s[0:1]
	v_mov_b32_e32 v4, s2
	v_mov_b32_e32 v5, s3
	v_cvt_f32_f64_e32 v8, v[8:9]
	v_cvt_f32_f64_e32 v9, v[0:1]
	v_mad_u64_u32 v[0:1], s[2:3], s4, v25, 0
	v_mov_b32_e32 v10, v1
	v_mad_u64_u32 v[10:11], s[2:3], s5, v25, v[10:11]
	v_mov_b32_e32 v1, v10
	v_lshl_add_u64 v[4:5], v[6:7], 3, v[4:5]
	v_lshl_add_u64 v[0:1], v[0:1], 3, v[4:5]
	ds_read_b64 v[4:5], v43 offset:112
	v_mul_f32_e32 v6, v29, v3
	v_fmac_f32_e32 v6, v28, v2
	v_mul_f32_e32 v2, v29, v2
	v_fma_f32 v2, v28, v3, -v2
	v_cvt_f64_f32_e32 v[6:7], v6
	v_cvt_f64_f32_e32 v[2:3], v2
	v_mul_f64 v[6:7], v[6:7], s[0:1]
	v_mul_f64 v[2:3], v[2:3], s[0:1]
	v_cvt_f32_f64_e32 v6, v[6:7]
	v_cvt_f32_f64_e32 v7, v[2:3]
	s_waitcnt lgkmcnt(0)
	v_mul_f32_e32 v2, v27, v5
	v_fmac_f32_e32 v2, v26, v4
	v_cvt_f64_f32_e32 v[2:3], v2
	v_mul_f64 v[2:3], v[2:3], s[0:1]
	global_store_dwordx2 v[0:1], v[8:9], off
	v_mad_u64_u32 v[0:1], s[2:3], s4, 56, v[0:1]
	v_cvt_f32_f64_e32 v2, v[2:3]
	v_mul_f32_e32 v3, v27, v4
	s_mul_i32 s2, s5, 56
	v_fma_f32 v3, v26, v5, -v3
	v_add_u32_e32 v1, s2, v1
	v_cvt_f64_f32_e32 v[4:5], v3
	global_store_dwordx2 v[0:1], v[6:7], off
	v_mul_f64 v[4:5], v[4:5], s[0:1]
	v_mad_u64_u32 v[0:1], s[0:1], s4, 56, v[0:1]
	v_cvt_f32_f64_e32 v3, v[4:5]
	v_add_u32_e32 v1, s2, v1
	global_store_dwordx2 v[0:1], v[2:3], off
.LBB0_10:
	s_endpgm
	.section	.rodata,"a",@progbits
	.p2align	6, 0x0
	.amdhsa_kernel bluestein_single_fwd_len21_dim1_sp_op_CI_CI
		.amdhsa_group_segment_fixed_size 3024
		.amdhsa_private_segment_fixed_size 0
		.amdhsa_kernarg_size 104
		.amdhsa_user_sgpr_count 2
		.amdhsa_user_sgpr_dispatch_ptr 0
		.amdhsa_user_sgpr_queue_ptr 0
		.amdhsa_user_sgpr_kernarg_segment_ptr 1
		.amdhsa_user_sgpr_dispatch_id 0
		.amdhsa_user_sgpr_kernarg_preload_length 0
		.amdhsa_user_sgpr_kernarg_preload_offset 0
		.amdhsa_user_sgpr_private_segment_size 0
		.amdhsa_uses_dynamic_stack 0
		.amdhsa_enable_private_segment 0
		.amdhsa_system_sgpr_workgroup_id_x 1
		.amdhsa_system_sgpr_workgroup_id_y 0
		.amdhsa_system_sgpr_workgroup_id_z 0
		.amdhsa_system_sgpr_workgroup_info 0
		.amdhsa_system_vgpr_workitem_id 0
		.amdhsa_next_free_vgpr 60
		.amdhsa_next_free_sgpr 26
		.amdhsa_accum_offset 60
		.amdhsa_reserve_vcc 1
		.amdhsa_float_round_mode_32 0
		.amdhsa_float_round_mode_16_64 0
		.amdhsa_float_denorm_mode_32 3
		.amdhsa_float_denorm_mode_16_64 3
		.amdhsa_dx10_clamp 1
		.amdhsa_ieee_mode 1
		.amdhsa_fp16_overflow 0
		.amdhsa_tg_split 0
		.amdhsa_exception_fp_ieee_invalid_op 0
		.amdhsa_exception_fp_denorm_src 0
		.amdhsa_exception_fp_ieee_div_zero 0
		.amdhsa_exception_fp_ieee_overflow 0
		.amdhsa_exception_fp_ieee_underflow 0
		.amdhsa_exception_fp_ieee_inexact 0
		.amdhsa_exception_int_div_zero 0
	.end_amdhsa_kernel
	.text
.Lfunc_end0:
	.size	bluestein_single_fwd_len21_dim1_sp_op_CI_CI, .Lfunc_end0-bluestein_single_fwd_len21_dim1_sp_op_CI_CI
                                        ; -- End function
	.section	.AMDGPU.csdata,"",@progbits
; Kernel info:
; codeLenInByte = 2992
; NumSgprs: 32
; NumVgprs: 60
; NumAgprs: 0
; TotalNumVgprs: 60
; ScratchSize: 0
; MemoryBound: 0
; FloatMode: 240
; IeeeMode: 1
; LDSByteSize: 3024 bytes/workgroup (compile time only)
; SGPRBlocks: 3
; VGPRBlocks: 7
; NumSGPRsForWavesPerEU: 32
; NumVGPRsForWavesPerEU: 60
; AccumOffset: 60
; Occupancy: 8
; WaveLimiterHint : 1
; COMPUTE_PGM_RSRC2:SCRATCH_EN: 0
; COMPUTE_PGM_RSRC2:USER_SGPR: 2
; COMPUTE_PGM_RSRC2:TRAP_HANDLER: 0
; COMPUTE_PGM_RSRC2:TGID_X_EN: 1
; COMPUTE_PGM_RSRC2:TGID_Y_EN: 0
; COMPUTE_PGM_RSRC2:TGID_Z_EN: 0
; COMPUTE_PGM_RSRC2:TIDIG_COMP_CNT: 0
; COMPUTE_PGM_RSRC3_GFX90A:ACCUM_OFFSET: 14
; COMPUTE_PGM_RSRC3_GFX90A:TG_SPLIT: 0
	.text
	.p2alignl 6, 3212836864
	.fill 256, 4, 3212836864
	.type	__hip_cuid_cd23287b9c7cba20,@object ; @__hip_cuid_cd23287b9c7cba20
	.section	.bss,"aw",@nobits
	.globl	__hip_cuid_cd23287b9c7cba20
__hip_cuid_cd23287b9c7cba20:
	.byte	0                               ; 0x0
	.size	__hip_cuid_cd23287b9c7cba20, 1

	.ident	"AMD clang version 19.0.0git (https://github.com/RadeonOpenCompute/llvm-project roc-6.4.0 25133 c7fe45cf4b819c5991fe208aaa96edf142730f1d)"
	.section	".note.GNU-stack","",@progbits
	.addrsig
	.addrsig_sym __hip_cuid_cd23287b9c7cba20
	.amdgpu_metadata
---
amdhsa.kernels:
  - .agpr_count:     0
    .args:
      - .actual_access:  read_only
        .address_space:  global
        .offset:         0
        .size:           8
        .value_kind:     global_buffer
      - .actual_access:  read_only
        .address_space:  global
        .offset:         8
        .size:           8
        .value_kind:     global_buffer
      - .actual_access:  read_only
        .address_space:  global
        .offset:         16
        .size:           8
        .value_kind:     global_buffer
      - .actual_access:  read_only
        .address_space:  global
        .offset:         24
        .size:           8
        .value_kind:     global_buffer
      - .actual_access:  read_only
        .address_space:  global
        .offset:         32
        .size:           8
        .value_kind:     global_buffer
      - .offset:         40
        .size:           8
        .value_kind:     by_value
      - .address_space:  global
        .offset:         48
        .size:           8
        .value_kind:     global_buffer
      - .address_space:  global
        .offset:         56
        .size:           8
        .value_kind:     global_buffer
      - .address_space:  global
        .offset:         64
        .size:           8
        .value_kind:     global_buffer
      - .address_space:  global
        .offset:         72
        .size:           8
        .value_kind:     global_buffer
      - .offset:         80
        .size:           4
        .value_kind:     by_value
      - .address_space:  global
        .offset:         88
        .size:           8
        .value_kind:     global_buffer
      - .address_space:  global
        .offset:         96
        .size:           8
        .value_kind:     global_buffer
    .group_segment_fixed_size: 3024
    .kernarg_segment_align: 8
    .kernarg_segment_size: 104
    .language:       OpenCL C
    .language_version:
      - 2
      - 0
    .max_flat_workgroup_size: 126
    .name:           bluestein_single_fwd_len21_dim1_sp_op_CI_CI
    .private_segment_fixed_size: 0
    .sgpr_count:     32
    .sgpr_spill_count: 0
    .symbol:         bluestein_single_fwd_len21_dim1_sp_op_CI_CI.kd
    .uniform_work_group_size: 1
    .uses_dynamic_stack: false
    .vgpr_count:     60
    .vgpr_spill_count: 0
    .wavefront_size: 64
amdhsa.target:   amdgcn-amd-amdhsa--gfx950
amdhsa.version:
  - 1
  - 2
...

	.end_amdgpu_metadata
